;; amdgpu-corpus repo=ROCm/rocFFT kind=compiled arch=gfx906 opt=O3
	.text
	.amdgcn_target "amdgcn-amd-amdhsa--gfx906"
	.amdhsa_code_object_version 6
	.protected	bluestein_single_fwd_len56_dim1_sp_op_CI_CI ; -- Begin function bluestein_single_fwd_len56_dim1_sp_op_CI_CI
	.globl	bluestein_single_fwd_len56_dim1_sp_op_CI_CI
	.p2align	8
	.type	bluestein_single_fwd_len56_dim1_sp_op_CI_CI,@function
bluestein_single_fwd_len56_dim1_sp_op_CI_CI: ; @bluestein_single_fwd_len56_dim1_sp_op_CI_CI
; %bb.0:
	s_load_dwordx4 s[12:15], s[4:5], 0x28
	v_lshrrev_b32_e32 v1, 3, v0
	v_lshl_or_b32 v22, s6, 4, v1
	v_mov_b32_e32 v23, 0
	s_waitcnt lgkmcnt(0)
	v_cmp_gt_u64_e32 vcc, s[12:13], v[22:23]
	s_and_saveexec_b64 s[0:1], vcc
	s_cbranch_execz .LBB0_10
; %bb.1:
	s_load_dwordx4 s[0:3], s[4:5], 0x18
	s_load_dwordx4 s[8:11], s[4:5], 0x0
	v_and_b32_e32 v47, 7, v0
	v_lshlrev_b32_e32 v50, 3, v47
	v_mul_u32_u24_e32 v33, 56, v1
	s_waitcnt lgkmcnt(0)
	s_load_dwordx4 s[16:19], s[0:1], 0x0
	v_lshl_or_b32 v48, v33, 3, v50
	v_mov_b32_e32 v34, s9
	s_load_dwordx2 s[4:5], s[4:5], 0x38
	s_mov_b32 s6, 0x3f5ff5aa
	s_waitcnt lgkmcnt(0)
	v_mad_u64_u32 v[2:3], s[0:1], s18, v22, 0
	v_mad_u64_u32 v[4:5], s[0:1], s16, v47, 0
	v_mov_b32_e32 v0, v3
	s_mov_b32 s7, 0x3f3bfb3b
	v_mov_b32_e32 v3, v5
	v_mad_u64_u32 v[5:6], s[0:1], s19, v22, v[0:1]
	v_mad_u64_u32 v[6:7], s[0:1], s17, v47, v[3:4]
	v_mov_b32_e32 v3, v5
	v_lshlrev_b64 v[2:3], 3, v[2:3]
	v_mov_b32_e32 v5, v6
	v_mov_b32_e32 v0, s15
	v_lshlrev_b64 v[4:5], 3, v[4:5]
	v_add_co_u32_e32 v2, vcc, s14, v2
	v_addc_co_u32_e32 v0, vcc, v0, v3, vcc
	v_add_co_u32_e32 v2, vcc, v2, v4
	v_addc_co_u32_e32 v3, vcc, v0, v5, vcc
	s_lshl_b64 s[0:1], s[16:17], 6
	global_load_dwordx2 v[4:5], v[2:3], off
	v_mov_b32_e32 v0, s1
	v_add_co_u32_e32 v2, vcc, s0, v2
	v_addc_co_u32_e32 v3, vcc, v3, v0, vcc
	v_add_co_u32_e32 v6, vcc, s0, v2
	v_addc_co_u32_e32 v7, vcc, v3, v0, vcc
	global_load_dwordx2 v[29:30], v50, s[8:9]
	global_load_dwordx2 v[27:28], v50, s[8:9] offset:64
	global_load_dwordx2 v[8:9], v[2:3], off
	global_load_dwordx2 v[10:11], v[6:7], off
	v_add_co_u32_e32 v2, vcc, s0, v6
	v_addc_co_u32_e32 v3, vcc, v7, v0, vcc
	v_add_co_u32_e32 v6, vcc, s0, v2
	v_addc_co_u32_e32 v7, vcc, v3, v0, vcc
	global_load_dwordx2 v[25:26], v50, s[8:9] offset:128
	global_load_dwordx2 v[23:24], v50, s[8:9] offset:192
	global_load_dwordx2 v[12:13], v[2:3], off
	global_load_dwordx2 v[14:15], v[6:7], off
	global_load_dwordx2 v[20:21], v50, s[8:9] offset:256
	v_add_co_u32_e32 v2, vcc, s0, v6
	v_addc_co_u32_e32 v3, vcc, v7, v0, vcc
	global_load_dwordx2 v[6:7], v[2:3], off
	global_load_dwordx2 v[18:19], v50, s[8:9] offset:320
	v_add_co_u32_e32 v2, vcc, s0, v2
	v_addc_co_u32_e32 v3, vcc, v3, v0, vcc
	global_load_dwordx2 v[16:17], v50, s[8:9] offset:384
	global_load_dwordx2 v[31:32], v[2:3], off
	v_or_b32_e32 v0, v33, v47
	v_lshlrev_b32_e32 v49, 3, v0
	s_load_dwordx4 s[0:3], s[2:3], 0x0
	s_mov_b32 s12, 0xbf3bfb3b
	s_waitcnt vmcnt(12)
	v_mul_f32_e32 v0, v5, v30
	v_mul_f32_e32 v1, v4, v30
	v_fmac_f32_e32 v0, v4, v29
	v_fma_f32 v1, v5, v29, -v1
	s_waitcnt vmcnt(10)
	v_mul_f32_e32 v2, v9, v28
	v_mul_f32_e32 v3, v8, v28
	ds_write_b64 v49, v[0:1]
	v_fmac_f32_e32 v2, v8, v27
	v_fma_f32 v3, v9, v27, -v3
	s_waitcnt vmcnt(8)
	v_mul_f32_e32 v0, v11, v26
	v_mul_f32_e32 v1, v10, v26
	v_fmac_f32_e32 v0, v10, v25
	v_fma_f32 v1, v11, v25, -v1
	s_waitcnt vmcnt(6)
	v_mul_f32_e32 v4, v13, v24
	v_mul_f32_e32 v5, v12, v24
	ds_write2_b64 v48, v[2:3], v[0:1] offset0:8 offset1:16
	s_waitcnt vmcnt(4)
	v_mul_f32_e32 v0, v15, v21
	v_mul_f32_e32 v1, v14, v21
	v_fmac_f32_e32 v4, v12, v23
	v_fma_f32 v5, v13, v23, -v5
	v_fmac_f32_e32 v0, v14, v20
	v_fma_f32 v1, v15, v20, -v1
	s_waitcnt vmcnt(2)
	v_mul_f32_e32 v2, v7, v19
	v_mul_f32_e32 v3, v6, v19
	ds_write2_b64 v48, v[4:5], v[0:1] offset0:24 offset1:32
	s_waitcnt vmcnt(0)
	v_mul_f32_e32 v0, v32, v17
	v_mul_f32_e32 v1, v31, v17
	v_fmac_f32_e32 v2, v6, v18
	v_fma_f32 v3, v7, v18, -v3
	v_fmac_f32_e32 v0, v31, v16
	v_fma_f32 v1, v32, v16, -v1
	ds_write2_b64 v48, v[2:3], v[0:1] offset0:40 offset1:48
	s_waitcnt lgkmcnt(0)
	s_barrier
	ds_read2_b64 v[0:3], v48 offset0:8 offset1:16
	ds_read2_b64 v[4:7], v48 offset0:40 offset1:48
	ds_read_b64 v[12:13], v49
	ds_read2_b64 v[8:11], v48 offset0:24 offset1:32
	v_add_co_u32_e32 v14, vcc, s8, v50
	v_addc_co_u32_e32 v15, vcc, 0, v34, vcc
	s_waitcnt lgkmcnt(2)
	v_add_f32_e32 v31, v0, v6
	v_sub_f32_e32 v0, v0, v6
	v_add_f32_e32 v6, v2, v4
	v_add_f32_e32 v32, v1, v7
	v_sub_f32_e32 v1, v1, v7
	v_add_f32_e32 v7, v3, v5
	v_sub_f32_e32 v2, v2, v4
	s_waitcnt lgkmcnt(0)
	v_add_f32_e32 v4, v8, v10
	v_sub_f32_e32 v8, v10, v8
	v_add_f32_e32 v10, v6, v31
	v_sub_f32_e32 v3, v3, v5
	;; [unrolled: 2-line block ×4, first 2 shown]
	v_sub_f32_e32 v31, v31, v4
	v_sub_f32_e32 v6, v4, v6
	v_add_f32_e32 v35, v8, v2
	v_add_f32_e32 v4, v4, v10
	v_sub_f32_e32 v37, v7, v32
	v_sub_f32_e32 v32, v32, v5
	;; [unrolled: 1-line block ×3, first 2 shown]
	v_add_f32_e32 v36, v9, v3
	v_sub_f32_e32 v38, v8, v2
	v_sub_f32_e32 v8, v0, v8
	;; [unrolled: 1-line block ×3, first 2 shown]
	v_add_f32_e32 v5, v5, v11
	v_add_f32_e32 v0, v35, v0
	;; [unrolled: 1-line block ×3, first 2 shown]
	v_sub_f32_e32 v10, v9, v3
	v_sub_f32_e32 v9, v1, v9
	;; [unrolled: 1-line block ×3, first 2 shown]
	v_add_f32_e32 v1, v36, v1
	v_add_f32_e32 v36, v13, v5
	v_mul_f32_e32 v12, 0x3f4a47b2, v32
	v_mul_f32_e32 v32, 0xbf08b237, v38
	v_mov_b32_e32 v38, v35
	v_mul_f32_e32 v11, 0x3f4a47b2, v31
	v_mul_f32_e32 v13, 0x3d64c772, v6
	;; [unrolled: 1-line block ×3, first 2 shown]
	v_fmac_f32_e32 v38, 0xbf955555, v4
	v_mov_b32_e32 v4, v36
	v_mul_f32_e32 v31, 0x3d64c772, v7
	v_fmac_f32_e32 v4, 0xbf955555, v5
	v_mul_f32_e32 v5, 0x3f5ff5aa, v2
	v_fma_f32 v13, v34, s7, -v13
	v_fma_f32 v34, v34, s12, -v11
	v_fmac_f32_e32 v11, 0x3d64c772, v6
	v_mul_f32_e32 v6, 0x3f5ff5aa, v3
	v_fma_f32 v2, v2, s6, -v32
	v_fma_f32 v3, v3, s6, -v10
	s_mov_b32 s6, 0xbeae86e6
	v_fma_f32 v31, v37, s7, -v31
	v_fma_f32 v37, v37, s12, -v12
	v_fmac_f32_e32 v12, 0x3d64c772, v7
	v_fmac_f32_e32 v32, 0x3eae86e6, v8
	v_fmac_f32_e32 v10, 0x3eae86e6, v9
	v_fma_f32 v5, v8, s6, -v5
	v_fma_f32 v6, v9, s6, -v6
	v_add_f32_e32 v7, v11, v38
	v_add_f32_e32 v8, v12, v4
	;; [unrolled: 1-line block ×6, first 2 shown]
	v_fmac_f32_e32 v32, 0x3ee1c552, v0
	v_fmac_f32_e32 v10, 0x3ee1c552, v1
	;; [unrolled: 1-line block ×6, first 2 shown]
	v_mul_u32_u24_e32 v0, 7, v47
	v_add_f32_e32 v45, v7, v10
	v_sub_f32_e32 v46, v8, v32
	v_add_f32_e32 v43, v6, v12
	v_sub_f32_e32 v44, v4, v5
	v_sub_f32_e32 v41, v9, v3
	v_add_f32_e32 v42, v2, v11
	v_add_f32_e32 v39, v3, v9
	v_sub_f32_e32 v40, v11, v2
	v_sub_f32_e32 v37, v12, v6
	v_add_f32_e32 v38, v5, v4
	v_sub_f32_e32 v12, v7, v10
	v_add_f32_e32 v13, v32, v8
	v_add_lshl_u32 v51, v33, v0, 3
	v_mov_b32_e32 v1, 0
	v_cmp_ne_u32_e32 vcc, 7, v47
	s_barrier
	ds_write2_b64 v51, v[35:36], v[45:46] offset1:1
	ds_write2_b64 v51, v[43:44], v[41:42] offset0:2 offset1:3
	ds_write2_b64 v51, v[39:40], v[37:38] offset0:4 offset1:5
	ds_write_b64 v51, v[12:13] offset:48
	s_waitcnt lgkmcnt(0)
	s_barrier
	v_mov_b32_e32 v2, 0
                                        ; implicit-def: $vgpr33
	s_and_saveexec_b64 s[6:7], vcc
	s_cbranch_execz .LBB0_3
; %bb.2:
	ds_read2_b64 v[3:6], v48 offset0:7 offset1:14
	ds_read2_b64 v[10:13], v48 offset0:35 offset1:42
	;; [unrolled: 1-line block ×3, first 2 shown]
	ds_read_b64 v[35:36], v49
	ds_read_b64 v[33:34], v48 offset:392
	v_mov_b32_e32 v2, v1
	v_mov_b32_e32 v1, v0
	s_waitcnt lgkmcnt(3)
	v_mov_b32_e32 v37, v10
	v_mov_b32_e32 v38, v11
	s_waitcnt lgkmcnt(2)
	v_mov_b32_e32 v39, v43
	v_mov_b32_e32 v40, v44
	;; [unrolled: 1-line block ×6, first 2 shown]
.LBB0_3:
	s_or_b64 exec, exec, s[6:7]
	v_lshlrev_b32_e32 v52, 3, v1
	global_load_dwordx4 v[8:11], v52, s[10:11]
	global_load_dwordx4 v[0:3], v52, s[10:11] offset:16
	global_load_dwordx4 v[4:7], v52, s[10:11] offset:32
	global_load_dwordx2 v[31:32], v52, s[10:11] offset:48
	s_waitcnt vmcnt(3)
	v_mul_f32_e32 v54, v46, v9
	v_mul_f32_e32 v53, v43, v11
	;; [unrolled: 1-line block ×4, first 2 shown]
	v_fma_f32 v54, v45, v8, -v54
	s_waitcnt vmcnt(2)
	v_mul_f32_e32 v45, v41, v1
	v_fmac_f32_e32 v53, v44, v10
	v_mul_f32_e32 v44, v39, v3
	v_mul_f32_e32 v56, v42, v1
	v_fmac_f32_e32 v52, v46, v8
	v_mul_f32_e32 v46, v40, v3
	v_fma_f32 v43, v43, v10, -v55
	s_waitcnt vmcnt(1)
	v_mul_f32_e32 v55, v38, v5
	v_fmac_f32_e32 v45, v42, v0
	v_mul_f32_e32 v42, v13, v7
	v_fmac_f32_e32 v44, v40, v2
	v_mul_f32_e32 v40, v12, v7
	v_mul_f32_e32 v57, v37, v5
	v_fma_f32 v39, v39, v2, -v46
	s_waitcnt vmcnt(0) lgkmcnt(0)
	v_mul_f32_e32 v46, v34, v32
	v_fma_f32 v37, v37, v4, -v55
	v_mul_f32_e32 v55, v33, v32
	v_fma_f32 v42, v12, v6, -v42
	v_fmac_f32_e32 v40, v13, v6
	v_fma_f32 v41, v41, v0, -v56
	v_fmac_f32_e32 v57, v38, v4
	;; [unrolled: 2-line block ×3, first 2 shown]
	v_sub_f32_e32 v12, v35, v39
	v_sub_f32_e32 v38, v36, v44
	;; [unrolled: 1-line block ×9, first 2 shown]
	v_add_f32_e32 v44, v38, v42
	v_sub_f32_e32 v40, v13, v55
	v_add_f32_e32 v46, v39, v57
	v_mov_b32_e32 v33, v37
	v_mov_b32_e32 v34, v44
	v_fmac_f32_e32 v33, 0x3f3504f3, v40
	v_fmac_f32_e32 v34, 0x3f3504f3, v46
	v_fmac_f32_e32 v33, 0xbf3504f3, v46
	v_fmac_f32_e32 v34, 0x3f3504f3, v40
	s_and_saveexec_b64 s[6:7], vcc
	s_cbranch_execz .LBB0_5
; %bb.4:
	v_fma_f32 v60, v36, 2.0, -v38
	v_fma_f32 v36, v53, 2.0, -v56
	;; [unrolled: 1-line block ×3, first 2 shown]
	v_sub_f32_e32 v56, v60, v36
	v_fma_f32 v36, v41, 2.0, -v57
	v_fma_f32 v57, v35, 2.0, -v12
	;; [unrolled: 1-line block ×6, first 2 shown]
	v_sub_f32_e32 v43, v57, v35
	v_fma_f32 v42, v52, 2.0, -v39
	v_fma_f32 v35, v45, 2.0, -v55
	;; [unrolled: 1-line block ×3, first 2 shown]
	v_mov_b32_e32 v38, v44
	v_fma_f32 v40, v13, 2.0, -v40
	v_mov_b32_e32 v37, v12
	v_sub_f32_e32 v45, v42, v35
	v_fmac_f32_e32 v38, 0xbf3504f3, v39
	v_fmac_f32_e32 v37, 0xbf3504f3, v40
	v_fma_f32 v54, v54, 2.0, -v13
	v_fmac_f32_e32 v38, 0x3f3504f3, v40
	v_fmac_f32_e32 v37, 0xbf3504f3, v39
	v_fma_f32 v39, v60, 2.0, -v56
	v_fma_f32 v40, v42, 2.0, -v45
	v_sub_f32_e32 v41, v54, v36
	v_sub_f32_e32 v35, v43, v45
	;; [unrolled: 1-line block ×3, first 2 shown]
	v_fma_f32 v52, v43, 2.0, -v35
	v_fma_f32 v42, v39, 2.0, -v40
	;; [unrolled: 1-line block ×4, first 2 shown]
	v_sub_f32_e32 v39, v43, v39
	v_add_f32_e32 v36, v56, v41
	v_fma_f32 v41, v43, 2.0, -v39
	v_fma_f32 v53, v56, 2.0, -v36
	;; [unrolled: 1-line block ×4, first 2 shown]
	ds_write_b64 v49, v[41:42]
	ds_write2_b64 v48, v[12:13], v[52:53] offset0:7 offset1:14
	ds_write2_b64 v48, v[58:59], v[39:40] offset0:21 offset1:28
	;; [unrolled: 1-line block ×3, first 2 shown]
	ds_write_b64 v48, v[33:34] offset:392
.LBB0_5:
	s_or_b64 exec, exec, s[6:7]
	s_waitcnt lgkmcnt(0)
	s_barrier
	global_load_dwordx2 v[14:15], v[14:15], off offset:448
	ds_read_b64 v[12:13], v49
	s_add_u32 s6, s8, 0x1c0
	s_addc_u32 s7, s9, 0
	s_waitcnt vmcnt(0) lgkmcnt(0)
	v_mul_f32_e32 v35, v13, v15
	v_mul_f32_e32 v36, v12, v15
	v_fma_f32 v35, v12, v14, -v35
	v_fmac_f32_e32 v36, v13, v14
	ds_write_b64 v49, v[35:36]
	global_load_dwordx2 v[35:36], v50, s[6:7] offset:64
	ds_read2_b64 v[12:15], v48 offset0:8 offset1:16
	s_waitcnt vmcnt(0) lgkmcnt(0)
	v_mul_f32_e32 v37, v13, v36
	v_mul_f32_e32 v38, v12, v36
	v_fma_f32 v37, v12, v35, -v37
	v_fmac_f32_e32 v38, v13, v35
	global_load_dwordx2 v[12:13], v50, s[6:7] offset:128
	s_waitcnt vmcnt(0)
	v_mul_f32_e32 v35, v15, v13
	v_mul_f32_e32 v36, v14, v13
	v_fma_f32 v35, v14, v12, -v35
	v_fmac_f32_e32 v36, v15, v12
	ds_write2_b64 v48, v[37:38], v[35:36] offset0:8 offset1:16
	global_load_dwordx2 v[35:36], v50, s[6:7] offset:192
	ds_read2_b64 v[12:15], v48 offset0:24 offset1:32
	s_waitcnt vmcnt(0) lgkmcnt(0)
	v_mul_f32_e32 v37, v13, v36
	v_mul_f32_e32 v38, v12, v36
	v_fma_f32 v37, v12, v35, -v37
	v_fmac_f32_e32 v38, v13, v35
	global_load_dwordx2 v[12:13], v50, s[6:7] offset:256
	s_waitcnt vmcnt(0)
	v_mul_f32_e32 v35, v15, v13
	v_mul_f32_e32 v36, v14, v13
	v_fma_f32 v35, v14, v12, -v35
	v_fmac_f32_e32 v36, v15, v12
	ds_write2_b64 v48, v[37:38], v[35:36] offset0:24 offset1:32
	global_load_dwordx2 v[35:36], v50, s[6:7] offset:320
	ds_read2_b64 v[12:15], v48 offset0:40 offset1:48
	s_waitcnt vmcnt(0) lgkmcnt(0)
	v_mul_f32_e32 v37, v13, v36
	v_mul_f32_e32 v38, v12, v36
	v_fma_f32 v37, v12, v35, -v37
	v_fmac_f32_e32 v38, v13, v35
	global_load_dwordx2 v[12:13], v50, s[6:7] offset:384
	s_mov_b32 s6, 0xbf5ff5aa
	s_mov_b32 s7, 0x3f3bfb3b
	s_waitcnt vmcnt(0)
	v_mul_f32_e32 v35, v15, v13
	v_mul_f32_e32 v36, v14, v13
	v_fma_f32 v35, v14, v12, -v35
	v_fmac_f32_e32 v36, v15, v12
	ds_write2_b64 v48, v[37:38], v[35:36] offset0:40 offset1:48
	s_waitcnt lgkmcnt(0)
	s_barrier
	ds_read_b64 v[43:44], v49
	ds_read2_b64 v[12:15], v48 offset0:8 offset1:16
	ds_read2_b64 v[35:38], v48 offset0:24 offset1:32
	;; [unrolled: 1-line block ×3, first 2 shown]
	s_waitcnt lgkmcnt(0)
	s_barrier
	v_add_f32_e32 v45, v12, v41
	v_sub_f32_e32 v12, v12, v41
	v_add_f32_e32 v41, v14, v39
	v_add_f32_e32 v46, v13, v42
	v_sub_f32_e32 v13, v13, v42
	v_add_f32_e32 v42, v15, v40
	v_sub_f32_e32 v14, v14, v39
	;; [unrolled: 2-line block ×5, first 2 shown]
	v_add_f32_e32 v38, v42, v46
	v_add_f32_e32 v37, v39, v37
	v_sub_f32_e32 v50, v41, v45
	v_sub_f32_e32 v45, v45, v39
	v_add_f32_e32 v53, v35, v14
	v_sub_f32_e32 v55, v35, v14
	v_sub_f32_e32 v57, v12, v35
	v_add_f32_e32 v38, v40, v38
	v_add_f32_e32 v35, v43, v37
	v_sub_f32_e32 v52, v42, v46
	v_sub_f32_e32 v46, v46, v40
	;; [unrolled: 1-line block ×4, first 2 shown]
	v_add_f32_e32 v54, v36, v15
	v_sub_f32_e32 v56, v36, v15
	v_sub_f32_e32 v58, v13, v36
	v_add_f32_e32 v36, v44, v38
	v_mul_f32_e32 v39, 0x3f4a47b2, v45
	v_mul_f32_e32 v45, 0x3f08b237, v55
	v_mov_b32_e32 v55, v35
	v_sub_f32_e32 v14, v14, v12
	v_sub_f32_e32 v15, v15, v13
	v_mul_f32_e32 v40, 0x3f4a47b2, v46
	v_mul_f32_e32 v43, 0x3d64c772, v41
	;; [unrolled: 1-line block ×4, first 2 shown]
	v_fmac_f32_e32 v55, 0xbf955555, v37
	v_mov_b32_e32 v37, v36
	v_add_f32_e32 v12, v53, v12
	v_add_f32_e32 v13, v54, v13
	v_mul_f32_e32 v53, 0xbf5ff5aa, v14
	v_mul_f32_e32 v54, 0xbf5ff5aa, v15
	v_fmac_f32_e32 v37, 0xbf955555, v38
	v_fma_f32 v38, v50, s7, -v43
	v_fma_f32 v43, v52, s7, -v44
	s_mov_b32 s7, 0xbf3bfb3b
	v_fma_f32 v14, v14, s6, -v45
	v_fma_f32 v15, v15, s6, -v46
	s_mov_b32 s6, 0x3eae86e6
	v_fma_f32 v44, v50, s7, -v39
	v_fmac_f32_e32 v39, 0x3d64c772, v41
	v_fma_f32 v41, v52, s7, -v40
	v_fmac_f32_e32 v40, 0x3d64c772, v42
	v_fmac_f32_e32 v45, 0xbeae86e6, v57
	;; [unrolled: 1-line block ×3, first 2 shown]
	v_fma_f32 v50, v57, s6, -v53
	v_fma_f32 v52, v58, s6, -v54
	v_add_f32_e32 v53, v39, v55
	v_add_f32_e32 v54, v40, v37
	;; [unrolled: 1-line block ×6, first 2 shown]
	v_fmac_f32_e32 v45, 0xbee1c552, v12
	v_fmac_f32_e32 v46, 0xbee1c552, v13
	;; [unrolled: 1-line block ×6, first 2 shown]
	v_add_f32_e32 v41, v53, v46
	v_sub_f32_e32 v42, v54, v45
	v_add_f32_e32 v37, v52, v55
	v_sub_f32_e32 v38, v56, v50
	v_sub_f32_e32 v43, v39, v15
	v_add_f32_e32 v44, v14, v40
	v_add_f32_e32 v12, v15, v39
	v_sub_f32_e32 v13, v40, v14
	v_sub_f32_e32 v39, v55, v52
	v_add_f32_e32 v40, v50, v56
	v_sub_f32_e32 v14, v53, v46
	v_add_f32_e32 v15, v45, v54
	ds_write2_b64 v51, v[35:36], v[41:42] offset1:1
	ds_write2_b64 v51, v[37:38], v[43:44] offset0:2 offset1:3
	ds_write2_b64 v51, v[12:13], v[39:40] offset0:4 offset1:5
	ds_write_b64 v51, v[14:15] offset:48
	s_waitcnt lgkmcnt(0)
	s_barrier
	s_and_saveexec_b64 s[6:7], vcc
	s_cbranch_execz .LBB0_7
; %bb.6:
	ds_read2_b64 v[12:15], v48 offset0:35 offset1:42
	ds_read2_b64 v[50:53], v48 offset0:7 offset1:14
	;; [unrolled: 1-line block ×3, first 2 shown]
	ds_read_b64 v[35:36], v49
	ds_read_b64 v[33:34], v48 offset:392
	s_waitcnt lgkmcnt(4)
	v_mov_b32_e32 v39, v12
	v_mov_b32_e32 v40, v13
	s_waitcnt lgkmcnt(2)
	v_mov_b32_e32 v12, v43
	v_mov_b32_e32 v13, v44
	;; [unrolled: 1-line block ×8, first 2 shown]
.LBB0_7:
	s_or_b64 exec, exec, s[6:7]
	s_and_saveexec_b64 s[6:7], vcc
	s_cbranch_execz .LBB0_9
; %bb.8:
	v_mul_f32_e32 v45, v3, v12
	v_fma_f32 v45, v2, v13, -v45
	s_waitcnt lgkmcnt(1)
	v_sub_f32_e32 v46, v36, v45
	v_mul_f32_e32 v50, v11, v38
	v_mul_f32_e32 v45, v7, v15
	v_fmac_f32_e32 v50, v10, v37
	v_fmac_f32_e32 v45, v6, v14
	v_sub_f32_e32 v51, v50, v45
	v_mul_f32_e32 v45, v9, v41
	v_fma_f32 v53, v8, v42, -v45
	v_mul_f32_e32 v45, v5, v39
	v_mul_f32_e32 v55, v1, v44
	;; [unrolled: 1-line block ×3, first 2 shown]
	v_fma_f32 v45, v4, v40, -v45
	v_fmac_f32_e32 v55, v0, v43
	v_fma_f32 v43, v0, v44, -v1
	s_waitcnt lgkmcnt(0)
	v_mul_f32_e32 v0, v32, v33
	v_sub_f32_e32 v54, v53, v45
	v_mul_f32_e32 v45, v32, v34
	v_fma_f32 v0, v31, v34, -v0
	v_fmac_f32_e32 v45, v31, v33
	v_sub_f32_e32 v31, v43, v0
	v_mul_f32_e32 v9, v9, v42
	v_mul_f32_e32 v0, v5, v40
	v_fmac_f32_e32 v9, v8, v41
	v_fmac_f32_e32 v0, v4, v39
	v_sub_f32_e32 v8, v9, v0
	v_mul_f32_e32 v0, v11, v37
	v_fma_f32 v4, v10, v38, -v0
	v_mul_f32_e32 v0, v7, v14
	v_fma_f32 v0, v6, v15, -v0
	v_sub_f32_e32 v5, v4, v0
	v_mul_f32_e32 v0, v3, v13
	v_fmac_f32_e32 v0, v2, v12
	v_sub_f32_e32 v6, v35, v0
	v_add_f32_e32 v10, v5, v6
	v_sub_f32_e32 v56, v55, v45
	v_add_f32_e32 v32, v31, v8
	v_mov_b32_e32 v44, v10
	v_sub_f32_e32 v57, v54, v56
	v_fmac_f32_e32 v44, 0x3f3504f3, v32
	v_fmac_f32_e32 v44, 0x3f3504f3, v57
	v_fma_f32 v11, v36, 2.0, -v46
	v_fma_f32 v2, v4, 2.0, -v5
	v_sub_f32_e32 v52, v46, v51
	v_fma_f32 v0, v10, 2.0, -v44
	v_sub_f32_e32 v12, v11, v2
	v_fma_f32 v14, v9, 2.0, -v8
	v_fma_f32 v2, v55, 2.0, -v56
	;; [unrolled: 1-line block ×3, first 2 shown]
	v_sub_f32_e32 v15, v14, v2
	v_fma_f32 v33, v35, 2.0, -v6
	v_fma_f32 v2, v50, 2.0, -v51
	;; [unrolled: 1-line block ×4, first 2 shown]
	v_mov_b32_e32 v6, v10
	v_sub_f32_e32 v34, v33, v2
	v_fma_f32 v13, v53, 2.0, -v54
	v_fma_f32 v2, v43, 2.0, -v31
	;; [unrolled: 1-line block ×3, first 2 shown]
	v_mov_b32_e32 v7, v9
	v_fmac_f32_e32 v6, 0xbf3504f3, v8
	v_sub_f32_e32 v31, v13, v2
	v_fmac_f32_e32 v7, 0xbf3504f3, v35
	v_fmac_f32_e32 v6, 0x3f3504f3, v35
	v_fmac_f32_e32 v7, 0xbf3504f3, v8
	v_fma_f32 v8, v10, 2.0, -v6
	v_fma_f32 v10, v11, 2.0, -v12
	;; [unrolled: 1-line block ×3, first 2 shown]
	v_sub_f32_e32 v3, v12, v15
	v_sub_f32_e32 v11, v10, v11
	v_mov_b32_e32 v45, v52
	v_fma_f32 v5, v12, 2.0, -v3
	v_fma_f32 v13, v10, 2.0, -v11
	;; [unrolled: 1-line block ×4, first 2 shown]
	v_fmac_f32_e32 v45, 0x3f3504f3, v57
	v_sub_f32_e32 v10, v12, v10
	v_fmac_f32_e32 v45, 0xbf3504f3, v32
	v_add_f32_e32 v2, v34, v31
	v_fma_f32 v12, v12, 2.0, -v10
	v_fma_f32 v1, v52, 2.0, -v45
	;; [unrolled: 1-line block ×4, first 2 shown]
	ds_write_b64 v49, v[12:13]
	ds_write2_b64 v48, v[8:9], v[4:5] offset0:7 offset1:14
	ds_write2_b64 v48, v[0:1], v[10:11] offset0:21 offset1:28
	;; [unrolled: 1-line block ×3, first 2 shown]
	ds_write_b64 v48, v[44:45] offset:392
.LBB0_9:
	s_or_b64 exec, exec, s[6:7]
	v_mad_u64_u32 v[4:5], s[6:7], s2, v22, 0
	s_waitcnt lgkmcnt(0)
	s_barrier
	ds_read_b64 v[0:1], v49
	v_mov_b32_e32 v2, v5
	v_mad_u64_u32 v[2:3], s[2:3], s3, v22, v[2:3]
	s_mov_b32 s2, 0x92492492
	s_waitcnt lgkmcnt(0)
	v_mul_f32_e32 v3, v30, v1
	v_fmac_f32_e32 v3, v29, v0
	v_mul_f32_e32 v0, v30, v0
	v_fma_f32 v0, v29, v1, -v0
	v_cvt_f64_f32_e32 v[5:6], v3
	v_cvt_f64_f32_e32 v[0:1], v0
	v_mad_u64_u32 v[8:9], s[6:7], s0, v47, 0
	s_mov_b32 s3, 0x3f924924
	v_mul_f64 v[6:7], v[5:6], s[2:3]
	v_mul_f64 v[10:11], v[0:1], s[2:3]
	v_mov_b32_e32 v0, v9
	v_mov_b32_e32 v5, v2
	v_mad_u64_u32 v[12:13], s[6:7], s1, v47, v[0:1]
	ds_read2_b64 v[0:3], v48 offset0:8 offset1:16
	v_lshlrev_b64 v[4:5], 3, v[4:5]
	v_cvt_f32_f64_e32 v6, v[6:7]
	v_cvt_f32_f64_e32 v7, v[10:11]
	v_mov_b32_e32 v9, v12
	s_waitcnt lgkmcnt(0)
	v_mul_f32_e32 v10, v28, v1
	v_fmac_f32_e32 v10, v27, v0
	v_mul_f32_e32 v0, v28, v0
	v_fma_f32 v0, v27, v1, -v0
	v_cvt_f64_f32_e32 v[10:11], v10
	v_cvt_f64_f32_e32 v[0:1], v0
	v_mov_b32_e32 v12, s5
	v_add_co_u32_e32 v13, vcc, s4, v4
	v_addc_co_u32_e32 v12, vcc, v12, v5, vcc
	v_mul_f64 v[4:5], v[10:11], s[2:3]
	v_mul_f64 v[0:1], v[0:1], s[2:3]
	v_lshlrev_b64 v[8:9], 3, v[8:9]
	s_lshl_b64 s[0:1], s[0:1], 6
	v_add_co_u32_e32 v8, vcc, v13, v8
	v_addc_co_u32_e32 v9, vcc, v12, v9, vcc
	v_cvt_f32_f64_e32 v4, v[4:5]
	v_cvt_f32_f64_e32 v5, v[0:1]
	v_mul_f32_e32 v0, v26, v3
	v_fmac_f32_e32 v0, v25, v2
	v_cvt_f64_f32_e32 v[0:1], v0
	v_mul_f32_e32 v2, v26, v2
	v_fma_f32 v2, v25, v3, -v2
	v_cvt_f64_f32_e32 v[2:3], v2
	global_store_dwordx2 v[8:9], v[6:7], off
	v_mul_f64 v[6:7], v[0:1], s[2:3]
	v_mov_b32_e32 v12, s1
	v_mul_f64 v[10:11], v[2:3], s[2:3]
	ds_read2_b64 v[0:3], v48 offset0:24 offset1:32
	v_add_co_u32_e32 v8, vcc, s0, v8
	v_addc_co_u32_e32 v9, vcc, v9, v12, vcc
	global_store_dwordx2 v[8:9], v[4:5], off
	v_cvt_f32_f64_e32 v4, v[6:7]
	s_waitcnt lgkmcnt(0)
	v_mul_f32_e32 v6, v24, v1
	v_fmac_f32_e32 v6, v23, v0
	v_mul_f32_e32 v0, v24, v0
	v_cvt_f32_f64_e32 v5, v[10:11]
	v_cvt_f64_f32_e32 v[6:7], v6
	v_fma_f32 v0, v23, v1, -v0
	v_cvt_f64_f32_e32 v[0:1], v0
	v_add_co_u32_e32 v8, vcc, s0, v8
	v_addc_co_u32_e32 v9, vcc, v9, v12, vcc
	global_store_dwordx2 v[8:9], v[4:5], off
	v_mul_f64 v[4:5], v[6:7], s[2:3]
	v_mul_f32_e32 v6, v21, v3
	v_mul_f64 v[0:1], v[0:1], s[2:3]
	v_fmac_f32_e32 v6, v20, v2
	v_cvt_f64_f32_e32 v[6:7], v6
	v_mul_f32_e32 v2, v21, v2
	v_fma_f32 v2, v20, v3, -v2
	v_cvt_f64_f32_e32 v[2:3], v2
	v_mul_f64 v[6:7], v[6:7], s[2:3]
	v_cvt_f32_f64_e32 v4, v[4:5]
	v_cvt_f32_f64_e32 v5, v[0:1]
	v_mul_f64 v[10:11], v[2:3], s[2:3]
	ds_read2_b64 v[0:3], v48 offset0:40 offset1:48
	v_add_co_u32_e32 v8, vcc, s0, v8
	v_addc_co_u32_e32 v9, vcc, v9, v12, vcc
	global_store_dwordx2 v[8:9], v[4:5], off
	v_cvt_f32_f64_e32 v4, v[6:7]
	s_waitcnt lgkmcnt(0)
	v_mul_f32_e32 v6, v19, v1
	v_fmac_f32_e32 v6, v18, v0
	v_cvt_f64_f32_e32 v[6:7], v6
	v_mul_f32_e32 v0, v19, v0
	v_fma_f32 v0, v18, v1, -v0
	v_cvt_f64_f32_e32 v[0:1], v0
	v_mul_f64 v[6:7], v[6:7], s[2:3]
	v_cvt_f32_f64_e32 v5, v[10:11]
	v_mul_f32_e32 v10, v17, v3
	v_fmac_f32_e32 v10, v16, v2
	v_mul_f32_e32 v2, v17, v2
	v_fma_f32 v2, v16, v3, -v2
	v_mul_f64 v[0:1], v[0:1], s[2:3]
	v_cvt_f64_f32_e32 v[10:11], v10
	v_cvt_f64_f32_e32 v[2:3], v2
	v_add_co_u32_e32 v8, vcc, s0, v8
	v_addc_co_u32_e32 v9, vcc, v9, v12, vcc
	global_store_dwordx2 v[8:9], v[4:5], off
	v_cvt_f32_f64_e32 v4, v[6:7]
	v_mul_f64 v[6:7], v[10:11], s[2:3]
	v_mul_f64 v[2:3], v[2:3], s[2:3]
	v_cvt_f32_f64_e32 v5, v[0:1]
	v_add_co_u32_e32 v0, vcc, s0, v8
	v_addc_co_u32_e32 v1, vcc, v9, v12, vcc
	global_store_dwordx2 v[0:1], v[4:5], off
	v_cvt_f32_f64_e32 v4, v[6:7]
	v_cvt_f32_f64_e32 v5, v[2:3]
	v_add_co_u32_e32 v0, vcc, s0, v0
	v_addc_co_u32_e32 v1, vcc, v1, v12, vcc
	global_store_dwordx2 v[0:1], v[4:5], off
.LBB0_10:
	s_endpgm
	.section	.rodata,"a",@progbits
	.p2align	6, 0x0
	.amdhsa_kernel bluestein_single_fwd_len56_dim1_sp_op_CI_CI
		.amdhsa_group_segment_fixed_size 7168
		.amdhsa_private_segment_fixed_size 0
		.amdhsa_kernarg_size 104
		.amdhsa_user_sgpr_count 6
		.amdhsa_user_sgpr_private_segment_buffer 1
		.amdhsa_user_sgpr_dispatch_ptr 0
		.amdhsa_user_sgpr_queue_ptr 0
		.amdhsa_user_sgpr_kernarg_segment_ptr 1
		.amdhsa_user_sgpr_dispatch_id 0
		.amdhsa_user_sgpr_flat_scratch_init 0
		.amdhsa_user_sgpr_private_segment_size 0
		.amdhsa_uses_dynamic_stack 0
		.amdhsa_system_sgpr_private_segment_wavefront_offset 0
		.amdhsa_system_sgpr_workgroup_id_x 1
		.amdhsa_system_sgpr_workgroup_id_y 0
		.amdhsa_system_sgpr_workgroup_id_z 0
		.amdhsa_system_sgpr_workgroup_info 0
		.amdhsa_system_vgpr_workitem_id 0
		.amdhsa_next_free_vgpr 61
		.amdhsa_next_free_sgpr 20
		.amdhsa_reserve_vcc 1
		.amdhsa_reserve_flat_scratch 0
		.amdhsa_float_round_mode_32 0
		.amdhsa_float_round_mode_16_64 0
		.amdhsa_float_denorm_mode_32 3
		.amdhsa_float_denorm_mode_16_64 3
		.amdhsa_dx10_clamp 1
		.amdhsa_ieee_mode 1
		.amdhsa_fp16_overflow 0
		.amdhsa_exception_fp_ieee_invalid_op 0
		.amdhsa_exception_fp_denorm_src 0
		.amdhsa_exception_fp_ieee_div_zero 0
		.amdhsa_exception_fp_ieee_overflow 0
		.amdhsa_exception_fp_ieee_underflow 0
		.amdhsa_exception_fp_ieee_inexact 0
		.amdhsa_exception_int_div_zero 0
	.end_amdhsa_kernel
	.text
.Lfunc_end0:
	.size	bluestein_single_fwd_len56_dim1_sp_op_CI_CI, .Lfunc_end0-bluestein_single_fwd_len56_dim1_sp_op_CI_CI
                                        ; -- End function
	.section	.AMDGPU.csdata,"",@progbits
; Kernel info:
; codeLenInByte = 4020
; NumSgprs: 24
; NumVgprs: 61
; ScratchSize: 0
; MemoryBound: 0
; FloatMode: 240
; IeeeMode: 1
; LDSByteSize: 7168 bytes/workgroup (compile time only)
; SGPRBlocks: 2
; VGPRBlocks: 15
; NumSGPRsForWavesPerEU: 24
; NumVGPRsForWavesPerEU: 61
; Occupancy: 4
; WaveLimiterHint : 1
; COMPUTE_PGM_RSRC2:SCRATCH_EN: 0
; COMPUTE_PGM_RSRC2:USER_SGPR: 6
; COMPUTE_PGM_RSRC2:TRAP_HANDLER: 0
; COMPUTE_PGM_RSRC2:TGID_X_EN: 1
; COMPUTE_PGM_RSRC2:TGID_Y_EN: 0
; COMPUTE_PGM_RSRC2:TGID_Z_EN: 0
; COMPUTE_PGM_RSRC2:TIDIG_COMP_CNT: 0
	.type	__hip_cuid_70507b4ab28022b8,@object ; @__hip_cuid_70507b4ab28022b8
	.section	.bss,"aw",@nobits
	.globl	__hip_cuid_70507b4ab28022b8
__hip_cuid_70507b4ab28022b8:
	.byte	0                               ; 0x0
	.size	__hip_cuid_70507b4ab28022b8, 1

	.ident	"AMD clang version 19.0.0git (https://github.com/RadeonOpenCompute/llvm-project roc-6.4.0 25133 c7fe45cf4b819c5991fe208aaa96edf142730f1d)"
	.section	".note.GNU-stack","",@progbits
	.addrsig
	.addrsig_sym __hip_cuid_70507b4ab28022b8
	.amdgpu_metadata
---
amdhsa.kernels:
  - .args:
      - .actual_access:  read_only
        .address_space:  global
        .offset:         0
        .size:           8
        .value_kind:     global_buffer
      - .actual_access:  read_only
        .address_space:  global
        .offset:         8
        .size:           8
        .value_kind:     global_buffer
      - .actual_access:  read_only
        .address_space:  global
        .offset:         16
        .size:           8
        .value_kind:     global_buffer
      - .actual_access:  read_only
        .address_space:  global
        .offset:         24
        .size:           8
        .value_kind:     global_buffer
      - .actual_access:  read_only
        .address_space:  global
        .offset:         32
        .size:           8
        .value_kind:     global_buffer
      - .offset:         40
        .size:           8
        .value_kind:     by_value
      - .address_space:  global
        .offset:         48
        .size:           8
        .value_kind:     global_buffer
      - .address_space:  global
        .offset:         56
        .size:           8
        .value_kind:     global_buffer
      - .address_space:  global
        .offset:         64
        .size:           8
        .value_kind:     global_buffer
      - .address_space:  global
        .offset:         72
        .size:           8
        .value_kind:     global_buffer
      - .offset:         80
        .size:           4
        .value_kind:     by_value
      - .address_space:  global
        .offset:         88
        .size:           8
        .value_kind:     global_buffer
      - .address_space:  global
        .offset:         96
        .size:           8
        .value_kind:     global_buffer
    .group_segment_fixed_size: 7168
    .kernarg_segment_align: 8
    .kernarg_segment_size: 104
    .language:       OpenCL C
    .language_version:
      - 2
      - 0
    .max_flat_workgroup_size: 128
    .name:           bluestein_single_fwd_len56_dim1_sp_op_CI_CI
    .private_segment_fixed_size: 0
    .sgpr_count:     24
    .sgpr_spill_count: 0
    .symbol:         bluestein_single_fwd_len56_dim1_sp_op_CI_CI.kd
    .uniform_work_group_size: 1
    .uses_dynamic_stack: false
    .vgpr_count:     61
    .vgpr_spill_count: 0
    .wavefront_size: 64
amdhsa.target:   amdgcn-amd-amdhsa--gfx906
amdhsa.version:
  - 1
  - 2
...

	.end_amdgpu_metadata
